;; amdgpu-corpus repo=ROCm/rocFFT kind=compiled arch=gfx906 opt=O3
	.text
	.amdgcn_target "amdgcn-amd-amdhsa--gfx906"
	.amdhsa_code_object_version 6
	.protected	fft_rtc_fwd_len1250_factors_5_10_5_5_wgs_250_tpt_250_halfLds_dp_ip_CI_sbrr_dirReg ; -- Begin function fft_rtc_fwd_len1250_factors_5_10_5_5_wgs_250_tpt_250_halfLds_dp_ip_CI_sbrr_dirReg
	.globl	fft_rtc_fwd_len1250_factors_5_10_5_5_wgs_250_tpt_250_halfLds_dp_ip_CI_sbrr_dirReg
	.p2align	8
	.type	fft_rtc_fwd_len1250_factors_5_10_5_5_wgs_250_tpt_250_halfLds_dp_ip_CI_sbrr_dirReg,@function
fft_rtc_fwd_len1250_factors_5_10_5_5_wgs_250_tpt_250_halfLds_dp_ip_CI_sbrr_dirReg: ; @fft_rtc_fwd_len1250_factors_5_10_5_5_wgs_250_tpt_250_halfLds_dp_ip_CI_sbrr_dirReg
; %bb.0:
	s_load_dwordx2 s[14:15], s[4:5], 0x18
	s_load_dwordx4 s[8:11], s[4:5], 0x0
	s_load_dwordx2 s[12:13], s[4:5], 0x50
	v_mul_u32_u24_e32 v1, 0x107, v0
	v_add_u32_sdwa v5, s6, v1 dst_sel:DWORD dst_unused:UNUSED_PAD src0_sel:DWORD src1_sel:WORD_1
	s_waitcnt lgkmcnt(0)
	s_load_dwordx2 s[2:3], s[14:15], 0x0
	v_cmp_lt_u64_e64 s[0:1], s[10:11], 2
	v_mov_b32_e32 v3, 0
	v_mov_b32_e32 v1, 0
	;; [unrolled: 1-line block ×3, first 2 shown]
	s_and_b64 vcc, exec, s[0:1]
	v_mov_b32_e32 v2, 0
	s_cbranch_vccnz .LBB0_8
; %bb.1:
	s_load_dwordx2 s[0:1], s[4:5], 0x10
	s_add_u32 s6, s14, 8
	s_addc_u32 s7, s15, 0
	v_mov_b32_e32 v1, 0
	v_mov_b32_e32 v2, 0
	s_waitcnt lgkmcnt(0)
	s_add_u32 s16, s0, 8
	s_addc_u32 s17, s1, 0
	s_mov_b64 s[18:19], 1
.LBB0_2:                                ; =>This Inner Loop Header: Depth=1
	s_load_dwordx2 s[20:21], s[16:17], 0x0
                                        ; implicit-def: $vgpr7_vgpr8
	s_waitcnt lgkmcnt(0)
	v_or_b32_e32 v4, s21, v6
	v_cmp_ne_u64_e32 vcc, 0, v[3:4]
	s_and_saveexec_b64 s[0:1], vcc
	s_xor_b64 s[22:23], exec, s[0:1]
	s_cbranch_execz .LBB0_4
; %bb.3:                                ;   in Loop: Header=BB0_2 Depth=1
	v_cvt_f32_u32_e32 v4, s20
	v_cvt_f32_u32_e32 v7, s21
	s_sub_u32 s0, 0, s20
	s_subb_u32 s1, 0, s21
	v_mac_f32_e32 v4, 0x4f800000, v7
	v_rcp_f32_e32 v4, v4
	v_mul_f32_e32 v4, 0x5f7ffffc, v4
	v_mul_f32_e32 v7, 0x2f800000, v4
	v_trunc_f32_e32 v7, v7
	v_mac_f32_e32 v4, 0xcf800000, v7
	v_cvt_u32_f32_e32 v7, v7
	v_cvt_u32_f32_e32 v4, v4
	v_mul_lo_u32 v8, s0, v7
	v_mul_hi_u32 v9, s0, v4
	v_mul_lo_u32 v11, s1, v4
	v_mul_lo_u32 v10, s0, v4
	v_add_u32_e32 v8, v9, v8
	v_add_u32_e32 v8, v8, v11
	v_mul_hi_u32 v9, v4, v10
	v_mul_lo_u32 v11, v4, v8
	v_mul_hi_u32 v13, v4, v8
	v_mul_hi_u32 v12, v7, v10
	v_mul_lo_u32 v10, v7, v10
	v_mul_hi_u32 v14, v7, v8
	v_add_co_u32_e32 v9, vcc, v9, v11
	v_addc_co_u32_e32 v11, vcc, 0, v13, vcc
	v_mul_lo_u32 v8, v7, v8
	v_add_co_u32_e32 v9, vcc, v9, v10
	v_addc_co_u32_e32 v9, vcc, v11, v12, vcc
	v_addc_co_u32_e32 v10, vcc, 0, v14, vcc
	v_add_co_u32_e32 v8, vcc, v9, v8
	v_addc_co_u32_e32 v9, vcc, 0, v10, vcc
	v_add_co_u32_e32 v4, vcc, v4, v8
	v_addc_co_u32_e32 v7, vcc, v7, v9, vcc
	v_mul_lo_u32 v8, s0, v7
	v_mul_hi_u32 v9, s0, v4
	v_mul_lo_u32 v10, s1, v4
	v_mul_lo_u32 v11, s0, v4
	v_add_u32_e32 v8, v9, v8
	v_add_u32_e32 v8, v8, v10
	v_mul_lo_u32 v12, v4, v8
	v_mul_hi_u32 v13, v4, v11
	v_mul_hi_u32 v14, v4, v8
	;; [unrolled: 1-line block ×3, first 2 shown]
	v_mul_lo_u32 v11, v7, v11
	v_mul_hi_u32 v9, v7, v8
	v_add_co_u32_e32 v12, vcc, v13, v12
	v_addc_co_u32_e32 v13, vcc, 0, v14, vcc
	v_mul_lo_u32 v8, v7, v8
	v_add_co_u32_e32 v11, vcc, v12, v11
	v_addc_co_u32_e32 v10, vcc, v13, v10, vcc
	v_addc_co_u32_e32 v9, vcc, 0, v9, vcc
	v_add_co_u32_e32 v8, vcc, v10, v8
	v_addc_co_u32_e32 v9, vcc, 0, v9, vcc
	v_add_co_u32_e32 v4, vcc, v4, v8
	v_addc_co_u32_e32 v9, vcc, v7, v9, vcc
	v_mad_u64_u32 v[7:8], s[0:1], v5, v9, 0
	v_mul_hi_u32 v10, v5, v4
	v_add_co_u32_e32 v11, vcc, v10, v7
	v_addc_co_u32_e32 v12, vcc, 0, v8, vcc
	v_mad_u64_u32 v[7:8], s[0:1], v6, v4, 0
	v_mad_u64_u32 v[9:10], s[0:1], v6, v9, 0
	v_add_co_u32_e32 v4, vcc, v11, v7
	v_addc_co_u32_e32 v4, vcc, v12, v8, vcc
	v_addc_co_u32_e32 v7, vcc, 0, v10, vcc
	v_add_co_u32_e32 v4, vcc, v4, v9
	v_addc_co_u32_e32 v9, vcc, 0, v7, vcc
	v_mul_lo_u32 v10, s21, v4
	v_mul_lo_u32 v11, s20, v9
	v_mad_u64_u32 v[7:8], s[0:1], s20, v4, 0
	v_add3_u32 v8, v8, v11, v10
	v_sub_u32_e32 v10, v6, v8
	v_mov_b32_e32 v11, s21
	v_sub_co_u32_e32 v7, vcc, v5, v7
	v_subb_co_u32_e64 v10, s[0:1], v10, v11, vcc
	v_subrev_co_u32_e64 v11, s[0:1], s20, v7
	v_subbrev_co_u32_e64 v10, s[0:1], 0, v10, s[0:1]
	v_cmp_le_u32_e64 s[0:1], s21, v10
	v_cndmask_b32_e64 v12, 0, -1, s[0:1]
	v_cmp_le_u32_e64 s[0:1], s20, v11
	v_cndmask_b32_e64 v11, 0, -1, s[0:1]
	v_cmp_eq_u32_e64 s[0:1], s21, v10
	v_cndmask_b32_e64 v10, v12, v11, s[0:1]
	v_add_co_u32_e64 v11, s[0:1], 2, v4
	v_addc_co_u32_e64 v12, s[0:1], 0, v9, s[0:1]
	v_add_co_u32_e64 v13, s[0:1], 1, v4
	v_addc_co_u32_e64 v14, s[0:1], 0, v9, s[0:1]
	v_subb_co_u32_e32 v8, vcc, v6, v8, vcc
	v_cmp_ne_u32_e64 s[0:1], 0, v10
	v_cmp_le_u32_e32 vcc, s21, v8
	v_cndmask_b32_e64 v10, v14, v12, s[0:1]
	v_cndmask_b32_e64 v12, 0, -1, vcc
	v_cmp_le_u32_e32 vcc, s20, v7
	v_cndmask_b32_e64 v7, 0, -1, vcc
	v_cmp_eq_u32_e32 vcc, s21, v8
	v_cndmask_b32_e32 v7, v12, v7, vcc
	v_cmp_ne_u32_e32 vcc, 0, v7
	v_cndmask_b32_e64 v7, v13, v11, s[0:1]
	v_cndmask_b32_e32 v8, v9, v10, vcc
	v_cndmask_b32_e32 v7, v4, v7, vcc
.LBB0_4:                                ;   in Loop: Header=BB0_2 Depth=1
	s_andn2_saveexec_b64 s[0:1], s[22:23]
	s_cbranch_execz .LBB0_6
; %bb.5:                                ;   in Loop: Header=BB0_2 Depth=1
	v_cvt_f32_u32_e32 v4, s20
	s_sub_i32 s22, 0, s20
	v_rcp_iflag_f32_e32 v4, v4
	v_mul_f32_e32 v4, 0x4f7ffffe, v4
	v_cvt_u32_f32_e32 v4, v4
	v_mul_lo_u32 v7, s22, v4
	v_mul_hi_u32 v7, v4, v7
	v_add_u32_e32 v4, v4, v7
	v_mul_hi_u32 v4, v5, v4
	v_mul_lo_u32 v7, v4, s20
	v_add_u32_e32 v8, 1, v4
	v_sub_u32_e32 v7, v5, v7
	v_subrev_u32_e32 v9, s20, v7
	v_cmp_le_u32_e32 vcc, s20, v7
	v_cndmask_b32_e32 v7, v7, v9, vcc
	v_cndmask_b32_e32 v4, v4, v8, vcc
	v_add_u32_e32 v8, 1, v4
	v_cmp_le_u32_e32 vcc, s20, v7
	v_cndmask_b32_e32 v7, v4, v8, vcc
	v_mov_b32_e32 v8, v3
.LBB0_6:                                ;   in Loop: Header=BB0_2 Depth=1
	s_or_b64 exec, exec, s[0:1]
	v_mul_lo_u32 v4, v8, s20
	v_mul_lo_u32 v11, v7, s21
	v_mad_u64_u32 v[9:10], s[0:1], v7, s20, 0
	s_load_dwordx2 s[0:1], s[6:7], 0x0
	s_add_u32 s18, s18, 1
	v_add3_u32 v4, v10, v11, v4
	v_sub_co_u32_e32 v5, vcc, v5, v9
	v_subb_co_u32_e32 v4, vcc, v6, v4, vcc
	s_waitcnt lgkmcnt(0)
	v_mul_lo_u32 v4, s0, v4
	v_mul_lo_u32 v6, s1, v5
	v_mad_u64_u32 v[1:2], s[0:1], s0, v5, v[1:2]
	s_addc_u32 s19, s19, 0
	s_add_u32 s6, s6, 8
	v_add3_u32 v2, v6, v2, v4
	v_mov_b32_e32 v4, s10
	v_mov_b32_e32 v5, s11
	s_addc_u32 s7, s7, 0
	v_cmp_ge_u64_e32 vcc, s[18:19], v[4:5]
	s_add_u32 s16, s16, 8
	s_addc_u32 s17, s17, 0
	s_cbranch_vccnz .LBB0_9
; %bb.7:                                ;   in Loop: Header=BB0_2 Depth=1
	v_mov_b32_e32 v5, v7
	v_mov_b32_e32 v6, v8
	s_branch .LBB0_2
.LBB0_8:
	v_mov_b32_e32 v8, v6
	v_mov_b32_e32 v7, v5
.LBB0_9:
	s_lshl_b64 s[0:1], s[10:11], 3
	s_add_u32 s0, s14, s0
	s_addc_u32 s1, s15, s1
	s_load_dwordx2 s[6:7], s[0:1], 0x0
	s_load_dwordx2 s[10:11], s[4:5], 0x20
	v_mov_b32_e32 v60, 0
                                        ; implicit-def: $vgpr28_vgpr29
                                        ; implicit-def: $vgpr32_vgpr33
                                        ; implicit-def: $vgpr36_vgpr37
                                        ; implicit-def: $vgpr24_vgpr25
	s_waitcnt lgkmcnt(0)
	v_mad_u64_u32 v[1:2], s[0:1], s6, v7, v[1:2]
	v_mul_lo_u32 v3, s6, v8
	v_mul_lo_u32 v4, s7, v7
	s_mov_b32 s0, 0x10624de
	v_mul_hi_u32 v5, v0, s0
	v_cmp_gt_u64_e32 vcc, s[10:11], v[7:8]
	v_add3_u32 v2, v4, v2, v3
	v_lshlrev_b64 v[40:41], 4, v[1:2]
	v_mul_u32_u24_e32 v3, 0xfa, v5
	v_sub_u32_e32 v61, v0, v3
                                        ; implicit-def: $vgpr6_vgpr7
	s_and_saveexec_b64 s[4:5], vcc
	s_cbranch_execz .LBB0_11
; %bb.10:
	v_mad_u64_u32 v[0:1], s[0:1], s2, v61, 0
	v_add_u32_e32 v5, 0xfa, v61
	v_mov_b32_e32 v4, s13
	v_mad_u64_u32 v[1:2], s[0:1], s3, v61, v[1:2]
	v_mad_u64_u32 v[2:3], s[0:1], s2, v5, 0
	v_add_co_u32_e64 v14, s[0:1], s12, v40
	v_addc_co_u32_e64 v15, s[0:1], v4, v41, s[0:1]
	v_mad_u64_u32 v[3:4], s[0:1], s3, v5, v[3:4]
	v_add_u32_e32 v6, 0x1f4, v61
	v_mad_u64_u32 v[4:5], s[0:1], s2, v6, 0
	v_lshlrev_b64 v[0:1], 4, v[0:1]
	v_add_u32_e32 v8, 0x2ee, v61
	v_add_co_u32_e64 v0, s[0:1], v14, v0
	v_addc_co_u32_e64 v1, s[0:1], v15, v1, s[0:1]
	v_mad_u64_u32 v[5:6], s[0:1], s3, v6, v[5:6]
	v_mad_u64_u32 v[6:7], s[0:1], s2, v8, 0
	v_lshlrev_b64 v[2:3], 4, v[2:3]
	v_add_u32_e32 v12, 0x3e8, v61
	v_add_co_u32_e64 v2, s[0:1], v14, v2
	v_addc_co_u32_e64 v3, s[0:1], v15, v3, s[0:1]
	v_mad_u64_u32 v[7:8], s[0:1], s3, v8, v[7:8]
	v_mad_u64_u32 v[8:9], s[0:1], s2, v12, 0
	v_lshlrev_b64 v[4:5], 4, v[4:5]
	v_mov_b32_e32 v60, v61
	v_add_co_u32_e64 v10, s[0:1], v14, v4
	v_addc_co_u32_e64 v11, s[0:1], v15, v5, s[0:1]
	v_lshlrev_b64 v[4:5], 4, v[6:7]
	v_mov_b32_e32 v6, v9
	v_mad_u64_u32 v[6:7], s[0:1], s3, v12, v[6:7]
	v_add_co_u32_e64 v12, s[0:1], v14, v4
	v_mov_b32_e32 v9, v6
	v_addc_co_u32_e64 v13, s[0:1], v15, v5, s[0:1]
	global_load_dwordx4 v[22:25], v[0:1], off
	global_load_dwordx4 v[4:7], v[2:3], off
	v_lshlrev_b64 v[0:1], 4, v[8:9]
	v_add_co_u32_e64 v0, s[0:1], v14, v0
	v_addc_co_u32_e64 v1, s[0:1], v15, v1, s[0:1]
	global_load_dwordx4 v[34:37], v[10:11], off
	global_load_dwordx4 v[30:33], v[12:13], off
	;; [unrolled: 1-line block ×3, first 2 shown]
.LBB0_11:
	s_or_b64 exec, exec, s[4:5]
	s_waitcnt vmcnt(0)
	v_add_f64 v[0:1], v[26:27], v[4:5]
	v_add_f64 v[10:11], v[30:31], v[34:35]
	v_add_f64 v[2:3], v[34:35], -v[4:5]
	v_add_f64 v[8:9], v[30:31], -v[26:27]
	;; [unrolled: 1-line block ×4, first 2 shown]
	v_add_f64 v[16:17], v[4:5], v[22:23]
	s_mov_b32 s6, 0x134454ff
	v_fma_f64 v[0:1], v[0:1], -0.5, v[22:23]
	v_fma_f64 v[10:11], v[10:11], -0.5, v[22:23]
	s_mov_b32 s7, 0x3fee6f0e
	s_mov_b32 s11, 0xbfee6f0e
	;; [unrolled: 1-line block ×3, first 2 shown]
	v_add_f64 v[18:19], v[8:9], v[2:3]
	v_add_f64 v[8:9], v[4:5], -v[34:35]
	v_add_f64 v[20:21], v[26:27], -v[30:31]
	v_fma_f64 v[2:3], v[12:13], s[10:11], v[0:1]
	v_add_f64 v[16:17], v[34:35], v[16:17]
	v_fma_f64 v[22:23], v[14:15], s[6:7], v[10:11]
	v_fma_f64 v[0:1], v[12:13], s[6:7], v[0:1]
	;; [unrolled: 1-line block ×3, first 2 shown]
	s_mov_b32 s4, 0x4755a5e
	s_mov_b32 s5, 0x3fe2cf23
	s_mov_b32 s15, 0xbfe2cf23
	s_mov_b32 s14, s4
	v_fma_f64 v[2:3], v[14:15], s[4:5], v[2:3]
	v_add_f64 v[20:21], v[20:21], v[8:9]
	v_add_f64 v[16:17], v[30:31], v[16:17]
	v_fma_f64 v[22:23], v[12:13], s[4:5], v[22:23]
	v_fma_f64 v[14:15], v[14:15], s[14:15], v[0:1]
	;; [unrolled: 1-line block ×3, first 2 shown]
	s_mov_b32 s16, 0x372fe950
	s_mov_b32 s17, 0x3fd3c6ef
	v_fma_f64 v[8:9], v[18:19], s[16:17], v[2:3]
	s_movk_i32 s0, 0x7d
	v_add_f64 v[0:1], v[26:27], v[16:17]
	v_fma_f64 v[2:3], v[20:21], s[16:17], v[22:23]
	v_fma_f64 v[10:11], v[18:19], s[16:17], v[14:15]
	;; [unrolled: 1-line block ×3, first 2 shown]
	v_mad_u32_u24 v42, v61, 40, 0
	v_cmp_gt_u32_e64 s[0:1], s0, v61
	v_lshlrev_b32_e32 v43, 5, v61
	ds_write2_b64 v42, v[0:1], v[2:3] offset1:1
	ds_write2_b64 v42, v[8:9], v[10:11] offset0:2 offset1:3
	ds_write_b64 v42, v[12:13] offset:32
	s_waitcnt lgkmcnt(0)
	s_barrier
	s_waitcnt lgkmcnt(0)
                                        ; implicit-def: $vgpr18_vgpr19
                                        ; implicit-def: $vgpr22_vgpr23
	s_and_saveexec_b64 s[18:19], s[0:1]
	s_cbranch_execz .LBB0_13
; %bb.12:
	v_sub_u32_e32 v16, v42, v43
	ds_read2_b64 v[0:3], v16 offset1:125
	v_add_u32_e32 v8, 0x400, v16
	v_add_u32_e32 v12, 0xc00, v16
	;; [unrolled: 1-line block ×4, first 2 shown]
	ds_read2_b64 v[8:11], v8 offset0:122 offset1:247
	ds_read2_b64 v[12:15], v12 offset0:116 offset1:241
	ds_read2_b64 v[20:23], v17 offset0:110 offset1:235
	ds_read2_b64 v[16:19], v16 offset0:104 offset1:229
.LBB0_13:
	s_or_b64 exec, exec, s[18:19]
	v_add_f64 v[38:39], v[32:33], v[36:37]
	v_add_f64 v[44:45], v[28:29], v[6:7]
	;; [unrolled: 1-line block ×3, first 2 shown]
	v_add_f64 v[4:5], v[4:5], -v[26:27]
	v_add_f64 v[26:27], v[34:35], -v[30:31]
	;; [unrolled: 1-line block ×4, first 2 shown]
	s_waitcnt lgkmcnt(0)
	v_fma_f64 v[30:31], v[38:39], -0.5, v[24:25]
	v_fma_f64 v[24:25], v[44:45], -0.5, v[24:25]
	v_add_f64 v[38:39], v[28:29], -v[32:33]
	v_add_f64 v[44:45], v[32:33], -v[28:29]
	v_add_f64 v[36:37], v[36:37], v[46:47]
	s_barrier
	v_fma_f64 v[46:47], v[4:5], s[10:11], v[30:31]
	v_fma_f64 v[48:49], v[26:27], s[6:7], v[24:25]
	;; [unrolled: 1-line block ×4, first 2 shown]
	v_add_f64 v[34:35], v[38:39], v[34:35]
	v_add_f64 v[38:39], v[44:45], v[6:7]
	v_add_f64 v[6:7], v[32:33], v[36:37]
	v_fma_f64 v[32:33], v[26:27], s[14:15], v[46:47]
	v_fma_f64 v[36:37], v[4:5], s[14:15], v[48:49]
	;; [unrolled: 1-line block ×4, first 2 shown]
	v_add_f64 v[4:5], v[28:29], v[6:7]
	v_fma_f64 v[6:7], v[34:35], s[16:17], v[32:33]
	v_fma_f64 v[24:25], v[38:39], s[16:17], v[36:37]
	;; [unrolled: 1-line block ×4, first 2 shown]
                                        ; implicit-def: $vgpr34_vgpr35
                                        ; implicit-def: $vgpr38_vgpr39
	ds_write2_b64 v42, v[4:5], v[6:7] offset1:1
	ds_write2_b64 v42, v[24:25], v[26:27] offset0:2 offset1:3
	ds_write_b64 v42, v[28:29] offset:32
	s_waitcnt lgkmcnt(0)
	s_barrier
	s_and_saveexec_b64 s[4:5], s[0:1]
	s_cbranch_execz .LBB0_15
; %bb.14:
	v_sub_u32_e32 v32, v42, v43
	ds_read2_b64 v[4:7], v32 offset1:125
	v_add_u32_e32 v24, 0x400, v32
	v_add_u32_e32 v28, 0xc00, v32
	;; [unrolled: 1-line block ×4, first 2 shown]
	ds_read2_b64 v[24:27], v24 offset0:122 offset1:247
	ds_read2_b64 v[28:31], v28 offset0:116 offset1:241
	;; [unrolled: 1-line block ×4, first 2 shown]
.LBB0_15:
	s_or_b64 exec, exec, s[4:5]
	s_movk_i32 s4, 0xcd
	v_mul_lo_u16_sdwa v42, v61, s4 dst_sel:DWORD dst_unused:UNUSED_PAD src0_sel:BYTE_0 src1_sel:DWORD
	v_lshrrev_b16_e32 v62, 10, v42
	v_mul_lo_u16_e32 v42, 5, v62
	v_sub_u16_e32 v63, v61, v42
	v_mov_b32_e32 v42, 9
	v_mul_u32_u24_sdwa v42, v63, v42 dst_sel:DWORD dst_unused:UNUSED_PAD src0_sel:BYTE_0 src1_sel:DWORD
	v_lshlrev_b32_e32 v50, 4, v42
	global_load_dwordx4 v[42:45], v50, s[8:9] offset:16
	global_load_dwordx4 v[46:49], v50, s[8:9] offset:32
	;; [unrolled: 1-line block ×8, first 2 shown]
	global_load_dwordx4 v[84:87], v50, s[8:9]
	s_mov_b32 s4, 0x134454ff
	s_mov_b32 s5, 0x3fee6f0e
	;; [unrolled: 1-line block ×6, first 2 shown]
	s_waitcnt vmcnt(0) lgkmcnt(0)
	s_barrier
	v_mul_f64 v[50:51], v[24:25], v[44:45]
	v_mul_f64 v[44:45], v[8:9], v[44:45]
	;; [unrolled: 1-line block ×18, first 2 shown]
	v_fma_f64 v[50:51], v[8:9], v[42:43], -v[50:51]
	v_fma_f64 v[42:43], v[24:25], v[42:43], v[44:45]
	v_fma_f64 v[58:59], v[10:11], v[46:47], -v[56:57]
	v_fma_f64 v[26:27], v[26:27], v[46:47], v[48:49]
	v_fma_f64 v[48:49], v[12:13], v[52:53], -v[88:89]
	v_fma_f64 v[56:57], v[14:15], v[64:65], -v[90:91]
	v_fma_f64 v[24:25], v[30:31], v[64:65], v[66:67]
	v_fma_f64 v[10:11], v[22:23], v[72:73], -v[94:95]
	v_fma_f64 v[8:9], v[18:19], v[80:81], -v[98:99]
	v_fma_f64 v[14:15], v[38:39], v[72:73], v[74:75]
	v_fma_f64 v[12:13], v[34:35], v[80:81], v[82:83]
	;; [unrolled: 1-line block ×3, first 2 shown]
	v_fma_f64 v[52:53], v[20:21], v[68:69], -v[92:93]
	v_fma_f64 v[20:21], v[36:37], v[68:69], v[70:71]
	v_fma_f64 v[54:55], v[16:17], v[76:77], -v[96:97]
	v_fma_f64 v[16:17], v[32:33], v[76:77], v[78:79]
	;; [unrolled: 2-line block ×3, first 2 shown]
	v_add_f64 v[6:7], v[58:59], -v[56:57]
	v_add_f64 v[22:23], v[8:9], -v[10:11]
	;; [unrolled: 1-line block ×6, first 2 shown]
	v_add_f64 v[46:47], v[56:57], v[10:11]
	v_add_f64 v[64:65], v[58:59], v[8:9]
	;; [unrolled: 1-line block ×4, first 2 shown]
	v_add_f64 v[38:39], v[24:25], -v[26:27]
	v_add_f64 v[44:45], v[14:15], -v[12:13]
	;; [unrolled: 1-line block ×6, first 2 shown]
	v_fma_f64 v[46:47], v[46:47], -0.5, v[2:3]
	v_add_f64 v[6:7], v[6:7], v[22:23]
	v_fma_f64 v[22:23], v[64:65], -0.5, v[2:3]
	v_add_f64 v[30:31], v[30:31], v[32:33]
	v_fma_f64 v[32:33], v[70:71], -0.5, v[18:19]
	v_add_f64 v[34:35], v[34:35], v[36:37]
	v_fma_f64 v[36:37], v[72:73], -0.5, v[18:19]
	v_add_f64 v[44:45], v[38:39], v[44:45]
	v_fma_f64 v[38:39], v[66:67], s[4:5], v[46:47]
	v_fma_f64 v[46:47], v[66:67], s[10:11], v[46:47]
	;; [unrolled: 1-line block ×24, first 2 shown]
	s_and_saveexec_b64 s[18:19], s[0:1]
	s_cbranch_execz .LBB0_17
; %bb.16:
	v_add_f64 v[6:7], v[48:49], v[52:53]
	v_add_f64 v[66:67], v[50:51], v[54:55]
	v_add_f64 v[70:71], v[42:43], -v[16:17]
	v_add_f64 v[64:65], v[50:51], -v[48:49]
	;; [unrolled: 1-line block ×4, first 2 shown]
	v_add_f64 v[2:3], v[2:3], v[58:59]
	v_add_f64 v[74:75], v[48:49], -v[50:51]
	v_fma_f64 v[6:7], v[6:7], -0.5, v[0:1]
	v_fma_f64 v[66:67], v[66:67], -0.5, v[0:1]
	v_add_f64 v[0:1], v[0:1], v[50:51]
	v_add_f64 v[76:77], v[52:53], -v[54:55]
	v_add_f64 v[64:65], v[64:65], v[68:69]
	s_mov_b32 s20, 0x9b97f4a8
	v_add_f64 v[2:3], v[2:3], v[56:57]
	v_mul_f64 v[78:79], v[30:31], s[16:17]
	v_fma_f64 v[80:81], v[70:71], s[10:11], v[6:7]
	v_fma_f64 v[84:85], v[72:73], s[4:5], v[66:67]
	v_add_f64 v[0:1], v[0:1], v[48:49]
	v_fma_f64 v[6:7], v[70:71], s[4:5], v[6:7]
	v_fma_f64 v[66:67], v[72:73], s[10:11], v[66:67]
	v_add_f64 v[68:69], v[74:75], v[76:77]
	v_add_f64 v[2:3], v[2:3], v[10:11]
	s_mov_b32 s21, 0x3fe9e377
	v_fma_f64 v[56:57], v[72:73], s[14:15], v[80:81]
	v_fma_f64 v[74:75], v[70:71], s[14:15], v[84:85]
	v_add_f64 v[0:1], v[0:1], v[52:53]
	v_fma_f64 v[6:7], v[72:73], s[6:7], v[6:7]
	v_mul_f64 v[58:59], v[34:35], s[4:5]
	v_fma_f64 v[66:67], v[70:71], s[6:7], v[66:67]
	v_mul_f64 v[82:83], v[22:23], s[20:21]
	v_fma_f64 v[72:73], v[44:45], s[4:5], -v[78:79]
	v_fma_f64 v[10:11], v[64:65], s[16:17], v[56:57]
	v_mul_f64 v[56:57], v[32:33], s[6:7]
	v_fma_f64 v[70:71], v[68:69], s[16:17], v[74:75]
	v_add_f64 v[0:1], v[0:1], v[54:55]
	v_add_f64 v[2:3], v[2:3], v[8:9]
	v_fma_f64 v[6:7], v[64:65], s[16:17], v[6:7]
	v_fma_f64 v[66:67], v[68:69], s[16:17], v[66:67]
	;; [unrolled: 1-line block ×3, first 2 shown]
	v_fma_f64 v[76:77], v[36:37], s[6:7], -v[82:83]
	v_fma_f64 v[8:9], v[46:47], s[20:21], v[56:57]
	v_add_f64 v[64:65], v[70:71], -v[72:73]
	v_add_f64 v[70:71], v[70:71], v[72:73]
	v_add_f64 v[74:75], v[0:1], -v[2:3]
	v_add_f64 v[0:1], v[0:1], v[2:3]
	v_add_f64 v[2:3], v[66:67], v[58:59]
	v_add_f64 v[56:57], v[10:11], -v[76:77]
	v_add_f64 v[72:73], v[6:7], v[8:9]
	v_add_f64 v[10:11], v[10:11], v[76:77]
	v_add_f64 v[68:69], v[66:67], -v[58:59]
	v_add_f64 v[6:7], v[6:7], -v[8:9]
	v_mov_b32_e32 v9, 3
	v_mul_u32_u24_e32 v8, 0x190, v62
	v_lshlrev_b32_sdwa v9, v9, v63 dst_sel:DWORD dst_unused:UNUSED_PAD src0_sel:DWORD src1_sel:BYTE_0
	v_add3_u32 v8, 0, v8, v9
	ds_write2_b64 v8, v[0:1], v[72:73] offset1:5
	ds_write2_b64 v8, v[2:3], v[70:71] offset0:10 offset1:15
	ds_write2_b64 v8, v[10:11], v[74:75] offset0:20 offset1:25
	;; [unrolled: 1-line block ×4, first 2 shown]
.LBB0_17:
	s_or_b64 exec, exec, s[18:19]
	v_lshl_add_u32 v56, v61, 3, 0
	v_add_u32_e32 v57, 0xf80, v56
	s_waitcnt lgkmcnt(0)
	s_barrier
	ds_read2_b64 v[0:3], v56 offset1:250
	ds_read2_b64 v[6:9], v57 offset0:4 offset1:254
	ds_read_b64 v[10:11], v56 offset:8000
	s_waitcnt lgkmcnt(0)
	s_barrier
	s_and_saveexec_b64 s[4:5], s[0:1]
	s_cbranch_execz .LBB0_19
; %bb.18:
	v_add_f64 v[58:59], v[28:29], v[20:21]
	v_add_f64 v[64:65], v[4:5], v[42:43]
	v_add_f64 v[48:49], v[48:49], -v[52:53]
	v_add_f64 v[50:51], v[50:51], -v[54:55]
	v_add_f64 v[18:19], v[18:19], v[26:27]
	s_mov_b32 s0, 0x134454ff
	s_mov_b32 s1, 0xbfee6f0e
	v_add_f64 v[54:55], v[42:43], -v[28:29]
	v_fma_f64 v[52:53], v[58:59], -0.5, v[4:5]
	v_add_f64 v[58:59], v[42:43], v[16:17]
	v_add_f64 v[64:65], v[64:65], v[28:29]
	v_add_f64 v[66:67], v[16:17], -v[20:21]
	s_mov_b32 s15, 0x3fee6f0e
	s_mov_b32 s14, s0
	v_add_f64 v[18:19], v[18:19], v[24:25]
	v_add_f64 v[28:29], v[28:29], -v[42:43]
	v_fma_f64 v[68:69], v[50:51], s[0:1], v[52:53]
	v_fma_f64 v[4:5], v[58:59], -0.5, v[4:5]
	v_add_f64 v[42:43], v[64:65], v[20:21]
	v_fma_f64 v[52:53], v[50:51], s[14:15], v[52:53]
	v_add_f64 v[20:21], v[20:21], -v[16:17]
	s_mov_b32 s6, 0x4755a5e
	s_mov_b32 s7, 0xbfe2cf23
	;; [unrolled: 1-line block ×4, first 2 shown]
	v_fma_f64 v[58:59], v[48:49], s[14:15], v[4:5]
	v_fma_f64 v[4:5], v[48:49], s[0:1], v[4:5]
	s_mov_b32 s17, 0x3fe2cf23
	v_add_f64 v[26:27], v[54:55], v[66:67]
	v_fma_f64 v[54:55], v[48:49], s[6:7], v[68:69]
	s_mov_b32 s16, s6
	v_add_f64 v[14:15], v[18:19], v[14:15]
	v_mul_f64 v[18:19], v[46:47], s[6:7]
	s_mov_b32 s14, 0x9b97f4a8
	v_add_f64 v[16:17], v[42:43], v[16:17]
	v_fma_f64 v[42:43], v[48:49], s[16:17], v[52:53]
	v_fma_f64 v[48:49], v[50:51], s[6:7], v[58:59]
	v_add_f64 v[20:21], v[28:29], v[20:21]
	v_fma_f64 v[4:5], v[50:51], s[16:17], v[4:5]
	s_mov_b32 s15, 0x3fe9e377
	v_mul_f64 v[28:29], v[38:39], s[0:1]
	v_mul_f64 v[38:39], v[44:45], s[10:11]
	;; [unrolled: 1-line block ×3, first 2 shown]
	v_fma_f64 v[24:25], v[26:27], s[10:11], v[54:55]
	v_add_f64 v[12:13], v[14:15], v[12:13]
	v_fma_f64 v[14:15], v[32:33], s[14:15], v[18:19]
	v_fma_f64 v[26:27], v[26:27], s[10:11], v[42:43]
	;; [unrolled: 1-line block ×5, first 2 shown]
	v_fma_f64 v[20:21], v[30:31], s[0:1], -v[38:39]
	v_fma_f64 v[22:23], v[22:23], s[6:7], -v[36:37]
	v_add_f64 v[28:29], v[16:17], v[12:13]
	v_add_f64 v[30:31], v[24:25], v[14:15]
	v_add_f64 v[12:13], v[16:17], -v[12:13]
	v_add_f64 v[14:15], v[24:25], -v[14:15]
	v_add_f64 v[32:33], v[42:43], v[18:19]
	v_add_f64 v[34:35], v[4:5], v[20:21]
	;; [unrolled: 1-line block ×3, first 2 shown]
	v_add_f64 v[16:17], v[42:43], -v[18:19]
	v_add_f64 v[4:5], v[4:5], -v[20:21]
	;; [unrolled: 1-line block ×3, first 2 shown]
	v_mov_b32_e32 v21, 3
	v_mul_u32_u24_e32 v20, 0x190, v62
	v_lshlrev_b32_sdwa v21, v21, v63 dst_sel:DWORD dst_unused:UNUSED_PAD src0_sel:DWORD src1_sel:BYTE_0
	v_add3_u32 v20, 0, v20, v21
	ds_write2_b64 v20, v[28:29], v[30:31] offset1:5
	ds_write2_b64 v20, v[32:33], v[34:35] offset0:10 offset1:15
	ds_write2_b64 v20, v[36:37], v[12:13] offset0:20 offset1:25
	;; [unrolled: 1-line block ×4, first 2 shown]
.LBB0_19:
	s_or_b64 exec, exec, s[4:5]
	v_mov_b32_e32 v4, 41
	v_mul_lo_u16_sdwa v4, v61, v4 dst_sel:DWORD dst_unused:UNUSED_PAD src0_sel:BYTE_0 src1_sel:DWORD
	v_lshrrev_b16_e32 v36, 11, v4
	v_mul_lo_u16_e32 v4, 50, v36
	v_sub_u16_e32 v37, v61, v4
	v_mov_b32_e32 v4, 6
	v_lshlrev_b32_sdwa v4, v4, v37 dst_sel:DWORD dst_unused:UNUSED_PAD src0_sel:DWORD src1_sel:BYTE_0
	s_waitcnt lgkmcnt(0)
	s_barrier
	global_load_dwordx4 v[12:15], v4, s[8:9] offset:720
	global_load_dwordx4 v[16:19], v4, s[8:9] offset:736
	;; [unrolled: 1-line block ×4, first 2 shown]
	ds_read2_b64 v[28:31], v56 offset1:250
	ds_read2_b64 v[32:35], v57 offset0:4 offset1:254
	ds_read_b64 v[4:5], v56 offset:8000
	v_mov_b32_e32 v38, 3
	v_mul_u32_u24_e32 v46, 0x7d0, v36
	v_lshlrev_b32_sdwa v47, v38, v37 dst_sel:DWORD dst_unused:UNUSED_PAD src0_sel:DWORD src1_sel:BYTE_0
	s_mov_b32 s6, 0x134454ff
	v_add3_u32 v54, 0, v46, v47
	s_mov_b32 s7, 0x3fee6f0e
	s_mov_b32 s15, 0xbfee6f0e
	;; [unrolled: 1-line block ×9, first 2 shown]
	s_waitcnt vmcnt(0) lgkmcnt(0)
	s_barrier
	v_mul_f64 v[36:37], v[30:31], v[14:15]
	v_mul_f64 v[38:39], v[32:33], v[18:19]
	;; [unrolled: 1-line block ×8, first 2 shown]
	v_fma_f64 v[2:3], v[2:3], v[12:13], -v[36:37]
	v_fma_f64 v[6:7], v[6:7], v[16:17], -v[38:39]
	;; [unrolled: 1-line block ×3, first 2 shown]
	v_fma_f64 v[4:5], v[4:5], v[24:25], v[44:45]
	v_fma_f64 v[10:11], v[10:11], v[24:25], -v[26:27]
	v_fma_f64 v[12:13], v[30:31], v[12:13], v[14:15]
	v_fma_f64 v[14:15], v[32:33], v[16:17], v[18:19]
	;; [unrolled: 1-line block ×3, first 2 shown]
	v_add_f64 v[18:19], v[0:1], v[2:3]
	v_add_f64 v[26:27], v[2:3], -v[6:7]
	v_add_f64 v[20:21], v[6:7], v[8:9]
	v_add_f64 v[34:35], v[6:7], -v[2:3]
	;; [unrolled: 2-line block ×3, first 2 shown]
	v_add_f64 v[38:39], v[28:29], v[12:13]
	v_add_f64 v[42:43], v[14:15], v[16:17]
	v_add_f64 v[50:51], v[12:13], v[4:5]
	v_add_f64 v[22:23], v[12:13], -v[4:5]
	v_add_f64 v[44:45], v[6:7], -v[8:9]
	v_add_f64 v[6:7], v[18:19], v[6:7]
	v_fma_f64 v[18:19], v[20:21], -0.5, v[0:1]
	v_add_f64 v[24:25], v[14:15], -v[16:17]
	v_add_f64 v[36:37], v[8:9], -v[10:11]
	v_fma_f64 v[0:1], v[32:33], -0.5, v[0:1]
	v_add_f64 v[2:3], v[2:3], -v[10:11]
	v_add_f64 v[46:47], v[12:13], -v[14:15]
	;; [unrolled: 1-line block ×3, first 2 shown]
	v_add_f64 v[20:21], v[26:27], v[30:31]
	v_add_f64 v[14:15], v[38:39], v[14:15]
	v_fma_f64 v[30:31], v[42:43], -0.5, v[28:29]
	v_fma_f64 v[28:29], v[50:51], -0.5, v[28:29]
	v_add_f64 v[6:7], v[6:7], v[8:9]
	v_fma_f64 v[8:9], v[22:23], s[6:7], v[18:19]
	v_add_f64 v[26:27], v[34:35], v[36:37]
	v_fma_f64 v[34:35], v[24:25], s[14:15], v[0:1]
	v_fma_f64 v[0:1], v[24:25], s[6:7], v[0:1]
	;; [unrolled: 1-line block ×3, first 2 shown]
	v_add_f64 v[48:49], v[4:5], -v[16:17]
	v_add_f64 v[52:53], v[16:17], -v[4:5]
	v_add_f64 v[14:15], v[14:15], v[16:17]
	v_fma_f64 v[16:17], v[2:3], s[14:15], v[30:31]
	v_fma_f64 v[30:31], v[2:3], s[6:7], v[30:31]
	;; [unrolled: 1-line block ×5, first 2 shown]
	v_add_f64 v[6:7], v[6:7], v[10:11]
	v_fma_f64 v[10:11], v[22:23], s[4:5], v[34:35]
	v_fma_f64 v[0:1], v[22:23], s[10:11], v[0:1]
	;; [unrolled: 1-line block ×3, first 2 shown]
	v_add_f64 v[32:33], v[46:47], v[48:49]
	v_fma_f64 v[16:17], v[44:45], s[10:11], v[16:17]
	v_add_f64 v[12:13], v[12:13], v[52:53]
	v_fma_f64 v[22:23], v[44:45], s[4:5], v[30:31]
	v_fma_f64 v[24:25], v[2:3], s[10:11], v[36:37]
	;; [unrolled: 1-line block ×7, first 2 shown]
	v_add_f64 v[14:15], v[14:15], v[4:5]
	v_fma_f64 v[16:17], v[32:33], s[0:1], v[16:17]
	v_fma_f64 v[20:21], v[32:33], s[0:1], v[22:23]
	v_fma_f64 v[22:23], v[12:13], s[0:1], v[24:25]
	v_fma_f64 v[12:13], v[12:13], s[0:1], v[2:3]
	ds_write2_b64 v54, v[6:7], v[8:9] offset1:50
	ds_write2_b64 v54, v[10:11], v[0:1] offset0:100 offset1:150
	ds_write_b64 v54, v[18:19] offset:1600
	s_waitcnt lgkmcnt(0)
	s_barrier
	ds_read2_b64 v[0:3], v56 offset1:250
	ds_read2_b64 v[4:7], v57 offset0:4 offset1:254
	ds_read_b64 v[8:9], v56 offset:8000
	s_waitcnt lgkmcnt(0)
	s_barrier
	ds_write2_b64 v54, v[14:15], v[16:17] offset1:50
	ds_write2_b64 v54, v[22:23], v[12:13] offset0:100 offset1:150
	ds_write_b64 v54, v[20:21] offset:1600
	s_waitcnt lgkmcnt(0)
	s_barrier
	s_and_saveexec_b64 s[16:17], vcc
	s_cbranch_execz .LBB0_21
; %bb.20:
	v_lshlrev_b32_e32 v10, 2, v61
	v_mov_b32_e32 v11, 0
	v_lshlrev_b64 v[10:11], 4, v[10:11]
	v_mov_b32_e32 v12, s9
	v_add_co_u32_e32 v26, vcc, s8, v10
	v_addc_co_u32_e32 v27, vcc, v12, v11, vcc
	global_load_dwordx4 v[10:13], v[26:27], off offset:3936
	global_load_dwordx4 v[14:17], v[26:27], off offset:3920
	;; [unrolled: 1-line block ×4, first 2 shown]
	v_mov_b32_e32 v38, s13
	v_add_u32_e32 v48, 0xfa, v60
	v_add_co_u32_e32 v63, vcc, s12, v40
	v_mad_u64_u32 v[36:37], s[8:9], s2, v60, 0
	v_add_u32_e32 v49, 0x1f4, v60
	v_addc_co_u32_e32 v64, vcc, v38, v41, vcc
	v_mad_u64_u32 v[38:39], s[8:9], s2, v48, 0
	v_add_u32_e32 v50, 0x2ee, v60
	v_mad_u64_u32 v[40:41], s[8:9], s2, v49, 0
	v_mad_u64_u32 v[42:43], s[8:9], s2, v50, 0
	;; [unrolled: 1-line block ×3, first 2 shown]
	v_mov_b32_e32 v37, v39
	v_add_u32_e32 v30, 0xf80, v56
	v_mov_b32_e32 v39, v41
	v_mad_u64_u32 v[47:48], s[8:9], s3, v48, v[37:38]
	ds_read2_b64 v[26:29], v56 offset1:250
	ds_read_b64 v[34:35], v56 offset:8000
	ds_read2_b64 v[30:33], v30 offset0:4 offset1:254
	v_mov_b32_e32 v41, v43
	v_mad_u64_u32 v[48:49], s[8:9], s3, v49, v[39:40]
	v_mad_u64_u32 v[49:50], s[8:9], s3, v50, v[41:42]
	v_mov_b32_e32 v37, v46
	v_mov_b32_e32 v39, v47
	v_mov_b32_e32 v41, v48
	v_mov_b32_e32 v43, v49
	v_lshlrev_b64 v[36:37], 4, v[36:37]
	v_lshlrev_b64 v[38:39], 4, v[38:39]
	v_add_co_u32_e32 v36, vcc, v63, v36
	v_addc_co_u32_e32 v37, vcc, v64, v37, vcc
	v_add_u32_e32 v62, 0x3e8, v60
	v_mad_u64_u32 v[44:45], s[8:9], s2, v62, 0
	v_lshlrev_b64 v[40:41], 4, v[40:41]
	s_waitcnt vmcnt(3)
	v_mul_f64 v[46:47], v[4:5], v[12:13]
	s_waitcnt vmcnt(2)
	v_mul_f64 v[48:49], v[2:3], v[16:17]
	;; [unrolled: 2-line block ×4, first 2 shown]
	s_waitcnt lgkmcnt(2)
	v_mul_f64 v[16:17], v[28:29], v[16:17]
	s_waitcnt lgkmcnt(1)
	v_mul_f64 v[24:25], v[34:35], v[24:25]
	;; [unrolled: 2-line block ×3, first 2 shown]
	v_mul_f64 v[20:21], v[32:33], v[20:21]
	v_fma_f64 v[30:31], v[30:31], v[10:11], v[46:47]
	v_fma_f64 v[28:29], v[28:29], v[14:15], v[48:49]
	;; [unrolled: 1-line block ×4, first 2 shown]
	v_fma_f64 v[2:3], v[2:3], v[14:15], -v[16:17]
	v_fma_f64 v[8:9], v[8:9], v[22:23], -v[24:25]
	;; [unrolled: 1-line block ×4, first 2 shown]
	v_add_co_u32_e32 v20, vcc, v63, v38
	v_addc_co_u32_e32 v21, vcc, v64, v39, vcc
	v_add_f64 v[10:11], v[30:31], -v[28:29]
	v_add_f64 v[12:13], v[32:33], -v[34:35]
	v_add_f64 v[16:17], v[28:29], v[34:35]
	v_add_f64 v[22:23], v[28:29], -v[30:31]
	v_add_f64 v[24:25], v[34:35], -v[32:33]
	v_add_f64 v[38:39], v[30:31], v[32:33]
	v_add_f64 v[46:47], v[28:29], v[26:27]
	;; [unrolled: 1-line block ×4, first 2 shown]
	v_add_f64 v[14:15], v[2:3], -v[8:9]
	v_add_f64 v[48:49], v[4:5], -v[2:3]
	;; [unrolled: 1-line block ×3, first 2 shown]
	v_add_f64 v[2:3], v[0:1], v[2:3]
	v_add_f64 v[18:19], v[4:5], -v[6:7]
	v_add_f64 v[50:51], v[6:7], -v[8:9]
	;; [unrolled: 1-line block ×4, first 2 shown]
	v_add_f64 v[12:13], v[10:11], v[12:13]
	v_fma_f64 v[10:11], v[16:17], -0.5, v[26:27]
	v_add_f64 v[16:17], v[22:23], v[24:25]
	v_fma_f64 v[22:23], v[38:39], -0.5, v[26:27]
	;; [unrolled: 2-line block ×3, first 2 shown]
	v_fma_f64 v[0:1], v[60:61], -0.5, v[0:1]
	v_add_f64 v[2:3], v[4:5], v[2:3]
	v_add_f64 v[58:59], v[8:9], -v[6:7]
	v_add_f64 v[26:27], v[48:49], v[50:51]
	v_fma_f64 v[4:5], v[18:19], s[14:15], v[10:11]
	v_fma_f64 v[10:11], v[18:19], s[6:7], v[10:11]
	;; [unrolled: 1-line block ×5, first 2 shown]
	v_add_f64 v[24:25], v[32:33], v[24:25]
	v_fma_f64 v[32:33], v[52:53], s[6:7], v[30:31]
	v_fma_f64 v[30:31], v[52:53], s[14:15], v[30:31]
	v_fma_f64 v[0:1], v[28:29], s[14:15], v[0:1]
	v_add_f64 v[6:7], v[2:3], v[6:7]
	v_add_f64 v[38:39], v[56:57], v[58:59]
	v_fma_f64 v[50:51], v[14:15], s[4:5], v[4:5]
	v_fma_f64 v[4:5], v[14:15], s[10:11], v[10:11]
	;; [unrolled: 1-line block ×7, first 2 shown]
	v_add_f64 v[2:3], v[34:35], v[24:25]
	v_fma_f64 v[24:25], v[52:53], s[10:11], v[0:1]
	v_add_f64 v[0:1], v[6:7], v[8:9]
	v_fma_f64 v[6:7], v[12:13], s[0:1], v[4:5]
	v_fma_f64 v[10:11], v[16:17], s[0:1], v[10:11]
	;; [unrolled: 1-line block ×6, first 2 shown]
	v_add_co_u32_e32 v28, vcc, v63, v40
	v_addc_co_u32_e32 v29, vcc, v64, v41, vcc
	global_store_dwordx4 v[36:37], v[0:3], off
	global_store_dwordx4 v[20:21], v[8:11], off
	;; [unrolled: 1-line block ×3, first 2 shown]
	v_mov_b32_e32 v2, v45
	v_fma_f64 v[18:19], v[16:17], s[0:1], v[46:47]
	v_fma_f64 v[16:17], v[38:39], s[0:1], v[24:25]
	v_mad_u64_u32 v[2:3], s[0:1], s3, v62, v[2:3]
	v_lshlrev_b64 v[0:1], 4, v[42:43]
	v_add_co_u32_e32 v0, vcc, v63, v0
	v_addc_co_u32_e32 v1, vcc, v64, v1, vcc
	v_mov_b32_e32 v45, v2
	global_store_dwordx4 v[0:1], v[12:15], off
	v_lshlrev_b64 v[0:1], 4, v[44:45]
	v_add_co_u32_e32 v0, vcc, v63, v0
	v_addc_co_u32_e32 v1, vcc, v64, v1, vcc
	global_store_dwordx4 v[0:1], v[16:19], off
.LBB0_21:
	s_endpgm
	.section	.rodata,"a",@progbits
	.p2align	6, 0x0
	.amdhsa_kernel fft_rtc_fwd_len1250_factors_5_10_5_5_wgs_250_tpt_250_halfLds_dp_ip_CI_sbrr_dirReg
		.amdhsa_group_segment_fixed_size 0
		.amdhsa_private_segment_fixed_size 0
		.amdhsa_kernarg_size 88
		.amdhsa_user_sgpr_count 6
		.amdhsa_user_sgpr_private_segment_buffer 1
		.amdhsa_user_sgpr_dispatch_ptr 0
		.amdhsa_user_sgpr_queue_ptr 0
		.amdhsa_user_sgpr_kernarg_segment_ptr 1
		.amdhsa_user_sgpr_dispatch_id 0
		.amdhsa_user_sgpr_flat_scratch_init 0
		.amdhsa_user_sgpr_private_segment_size 0
		.amdhsa_uses_dynamic_stack 0
		.amdhsa_system_sgpr_private_segment_wavefront_offset 0
		.amdhsa_system_sgpr_workgroup_id_x 1
		.amdhsa_system_sgpr_workgroup_id_y 0
		.amdhsa_system_sgpr_workgroup_id_z 0
		.amdhsa_system_sgpr_workgroup_info 0
		.amdhsa_system_vgpr_workitem_id 0
		.amdhsa_next_free_vgpr 102
		.amdhsa_next_free_sgpr 24
		.amdhsa_reserve_vcc 1
		.amdhsa_reserve_flat_scratch 0
		.amdhsa_float_round_mode_32 0
		.amdhsa_float_round_mode_16_64 0
		.amdhsa_float_denorm_mode_32 3
		.amdhsa_float_denorm_mode_16_64 3
		.amdhsa_dx10_clamp 1
		.amdhsa_ieee_mode 1
		.amdhsa_fp16_overflow 0
		.amdhsa_exception_fp_ieee_invalid_op 0
		.amdhsa_exception_fp_denorm_src 0
		.amdhsa_exception_fp_ieee_div_zero 0
		.amdhsa_exception_fp_ieee_overflow 0
		.amdhsa_exception_fp_ieee_underflow 0
		.amdhsa_exception_fp_ieee_inexact 0
		.amdhsa_exception_int_div_zero 0
	.end_amdhsa_kernel
	.text
.Lfunc_end0:
	.size	fft_rtc_fwd_len1250_factors_5_10_5_5_wgs_250_tpt_250_halfLds_dp_ip_CI_sbrr_dirReg, .Lfunc_end0-fft_rtc_fwd_len1250_factors_5_10_5_5_wgs_250_tpt_250_halfLds_dp_ip_CI_sbrr_dirReg
                                        ; -- End function
	.section	.AMDGPU.csdata,"",@progbits
; Kernel info:
; codeLenInByte = 6064
; NumSgprs: 28
; NumVgprs: 102
; ScratchSize: 0
; MemoryBound: 1
; FloatMode: 240
; IeeeMode: 1
; LDSByteSize: 0 bytes/workgroup (compile time only)
; SGPRBlocks: 3
; VGPRBlocks: 25
; NumSGPRsForWavesPerEU: 28
; NumVGPRsForWavesPerEU: 102
; Occupancy: 2
; WaveLimiterHint : 1
; COMPUTE_PGM_RSRC2:SCRATCH_EN: 0
; COMPUTE_PGM_RSRC2:USER_SGPR: 6
; COMPUTE_PGM_RSRC2:TRAP_HANDLER: 0
; COMPUTE_PGM_RSRC2:TGID_X_EN: 1
; COMPUTE_PGM_RSRC2:TGID_Y_EN: 0
; COMPUTE_PGM_RSRC2:TGID_Z_EN: 0
; COMPUTE_PGM_RSRC2:TIDIG_COMP_CNT: 0
	.type	__hip_cuid_55d53a8c8389528b,@object ; @__hip_cuid_55d53a8c8389528b
	.section	.bss,"aw",@nobits
	.globl	__hip_cuid_55d53a8c8389528b
__hip_cuid_55d53a8c8389528b:
	.byte	0                               ; 0x0
	.size	__hip_cuid_55d53a8c8389528b, 1

	.ident	"AMD clang version 19.0.0git (https://github.com/RadeonOpenCompute/llvm-project roc-6.4.0 25133 c7fe45cf4b819c5991fe208aaa96edf142730f1d)"
	.section	".note.GNU-stack","",@progbits
	.addrsig
	.addrsig_sym __hip_cuid_55d53a8c8389528b
	.amdgpu_metadata
---
amdhsa.kernels:
  - .args:
      - .actual_access:  read_only
        .address_space:  global
        .offset:         0
        .size:           8
        .value_kind:     global_buffer
      - .offset:         8
        .size:           8
        .value_kind:     by_value
      - .actual_access:  read_only
        .address_space:  global
        .offset:         16
        .size:           8
        .value_kind:     global_buffer
      - .actual_access:  read_only
        .address_space:  global
        .offset:         24
        .size:           8
        .value_kind:     global_buffer
      - .offset:         32
        .size:           8
        .value_kind:     by_value
      - .actual_access:  read_only
        .address_space:  global
        .offset:         40
        .size:           8
        .value_kind:     global_buffer
      - .actual_access:  read_only
        .address_space:  global
        .offset:         48
        .size:           8
        .value_kind:     global_buffer
      - .offset:         56
        .size:           4
        .value_kind:     by_value
      - .actual_access:  read_only
        .address_space:  global
        .offset:         64
        .size:           8
        .value_kind:     global_buffer
      - .actual_access:  read_only
        .address_space:  global
        .offset:         72
        .size:           8
        .value_kind:     global_buffer
      - .address_space:  global
        .offset:         80
        .size:           8
        .value_kind:     global_buffer
    .group_segment_fixed_size: 0
    .kernarg_segment_align: 8
    .kernarg_segment_size: 88
    .language:       OpenCL C
    .language_version:
      - 2
      - 0
    .max_flat_workgroup_size: 250
    .name:           fft_rtc_fwd_len1250_factors_5_10_5_5_wgs_250_tpt_250_halfLds_dp_ip_CI_sbrr_dirReg
    .private_segment_fixed_size: 0
    .sgpr_count:     28
    .sgpr_spill_count: 0
    .symbol:         fft_rtc_fwd_len1250_factors_5_10_5_5_wgs_250_tpt_250_halfLds_dp_ip_CI_sbrr_dirReg.kd
    .uniform_work_group_size: 1
    .uses_dynamic_stack: false
    .vgpr_count:     102
    .vgpr_spill_count: 0
    .wavefront_size: 64
amdhsa.target:   amdgcn-amd-amdhsa--gfx906
amdhsa.version:
  - 1
  - 2
...

	.end_amdgpu_metadata
